;; amdgpu-corpus repo=ROCm/rocm-examples kind=compiled arch=gfx906 opt=O3
	.amdgcn_target "amdgcn-amd-amdhsa--gfx906"
	.amdhsa_code_object_version 6
	.text
	.protected	_Z19apply_source_kernel10FDTD_SetupPff ; -- Begin function _Z19apply_source_kernel10FDTD_SetupPff
	.globl	_Z19apply_source_kernel10FDTD_SetupPff
	.p2align	8
	.type	_Z19apply_source_kernel10FDTD_SetupPff,@function
_Z19apply_source_kernel10FDTD_SetupPff: ; @_Z19apply_source_kernel10FDTD_SetupPff
; %bb.0:
	v_or_b32_e32 v0, s6, v0
	s_mov_b32 s1, 0
	v_cmp_eq_u32_e32 vcc, 0, v0
	s_and_saveexec_b64 s[2:3], vcc
	s_cbranch_execz .LBB0_2
; %bb.1:
	s_load_dwordx2 s[2:3], s[4:5], 0x0
	s_load_dwordx4 s[8:11], s[4:5], 0x20
	s_load_dwordx2 s[6:7], s[4:5], 0x40
	s_waitcnt lgkmcnt(0)
	s_load_dword s11, s[4:5], 0x48
	v_mov_b32_e32 v0, 0
                                        ; kill: killed $sgpr4_sgpr5
	s_mul_i32 s0, s3, s10
	s_add_i32 s0, s0, s9
	s_mul_i32 s0, s0, s2
	s_add_i32 s0, s0, s8
	s_lshl_b64 s[0:1], s[0:1], 2
	s_add_u32 s0, s6, s0
	s_addc_u32 s1, s7, s1
	s_load_dword s2, s[0:1], 0x0
	s_waitcnt lgkmcnt(0)
	v_mov_b32_e32 v1, s2
	v_add_f32_e32 v1, s11, v1
	global_store_dword v0, v1, s[0:1]
.LBB0_2:
	s_endpgm
	.section	.rodata,"a",@progbits
	.p2align	6, 0x0
	.amdhsa_kernel _Z19apply_source_kernel10FDTD_SetupPff
		.amdhsa_group_segment_fixed_size 0
		.amdhsa_private_segment_fixed_size 0
		.amdhsa_kernarg_size 76
		.amdhsa_user_sgpr_count 6
		.amdhsa_user_sgpr_private_segment_buffer 1
		.amdhsa_user_sgpr_dispatch_ptr 0
		.amdhsa_user_sgpr_queue_ptr 0
		.amdhsa_user_sgpr_kernarg_segment_ptr 1
		.amdhsa_user_sgpr_dispatch_id 0
		.amdhsa_user_sgpr_flat_scratch_init 0
		.amdhsa_user_sgpr_private_segment_size 0
		.amdhsa_uses_dynamic_stack 0
		.amdhsa_system_sgpr_private_segment_wavefront_offset 0
		.amdhsa_system_sgpr_workgroup_id_x 1
		.amdhsa_system_sgpr_workgroup_id_y 0
		.amdhsa_system_sgpr_workgroup_id_z 0
		.amdhsa_system_sgpr_workgroup_info 0
		.amdhsa_system_vgpr_workitem_id 0
		.amdhsa_next_free_vgpr 2
		.amdhsa_next_free_sgpr 12
		.amdhsa_reserve_vcc 1
		.amdhsa_reserve_flat_scratch 0
		.amdhsa_float_round_mode_32 0
		.amdhsa_float_round_mode_16_64 0
		.amdhsa_float_denorm_mode_32 3
		.amdhsa_float_denorm_mode_16_64 3
		.amdhsa_dx10_clamp 1
		.amdhsa_ieee_mode 1
		.amdhsa_fp16_overflow 0
		.amdhsa_exception_fp_ieee_invalid_op 0
		.amdhsa_exception_fp_denorm_src 0
		.amdhsa_exception_fp_ieee_div_zero 0
		.amdhsa_exception_fp_ieee_overflow 0
		.amdhsa_exception_fp_ieee_underflow 0
		.amdhsa_exception_fp_ieee_inexact 0
		.amdhsa_exception_int_div_zero 0
	.end_amdhsa_kernel
	.text
.Lfunc_end0:
	.size	_Z19apply_source_kernel10FDTD_SetupPff, .Lfunc_end0-_Z19apply_source_kernel10FDTD_SetupPff
                                        ; -- End function
	.set _Z19apply_source_kernel10FDTD_SetupPff.num_vgpr, 2
	.set _Z19apply_source_kernel10FDTD_SetupPff.num_agpr, 0
	.set _Z19apply_source_kernel10FDTD_SetupPff.numbered_sgpr, 12
	.set _Z19apply_source_kernel10FDTD_SetupPff.num_named_barrier, 0
	.set _Z19apply_source_kernel10FDTD_SetupPff.private_seg_size, 0
	.set _Z19apply_source_kernel10FDTD_SetupPff.uses_vcc, 1
	.set _Z19apply_source_kernel10FDTD_SetupPff.uses_flat_scratch, 0
	.set _Z19apply_source_kernel10FDTD_SetupPff.has_dyn_sized_stack, 0
	.set _Z19apply_source_kernel10FDTD_SetupPff.has_recursion, 0
	.set _Z19apply_source_kernel10FDTD_SetupPff.has_indirect_call, 0
	.section	.AMDGPU.csdata,"",@progbits
; Kernel info:
; codeLenInByte = 120
; TotalNumSgprs: 16
; NumVgprs: 2
; ScratchSize: 0
; MemoryBound: 0
; FloatMode: 240
; IeeeMode: 1
; LDSByteSize: 0 bytes/workgroup (compile time only)
; SGPRBlocks: 1
; VGPRBlocks: 0
; NumSGPRsForWavesPerEU: 16
; NumVGPRsForWavesPerEU: 2
; Occupancy: 10
; WaveLimiterHint : 0
; COMPUTE_PGM_RSRC2:SCRATCH_EN: 0
; COMPUTE_PGM_RSRC2:USER_SGPR: 6
; COMPUTE_PGM_RSRC2:TRAP_HANDLER: 0
; COMPUTE_PGM_RSRC2:TGID_X_EN: 1
; COMPUTE_PGM_RSRC2:TGID_Y_EN: 0
; COMPUTE_PGM_RSRC2:TGID_Z_EN: 0
; COMPUTE_PGM_RSRC2:TIDIG_COMP_CNT: 0
	.text
	.protected	_Z15updateHx_kernel10FDTD_Setup13Medium_ParamsPfPKfS3_ ; -- Begin function _Z15updateHx_kernel10FDTD_Setup13Medium_ParamsPfPKfS3_
	.globl	_Z15updateHx_kernel10FDTD_Setup13Medium_ParamsPfPKfS3_
	.p2align	8
	.type	_Z15updateHx_kernel10FDTD_Setup13Medium_ParamsPfPKfS3_,@function
_Z15updateHx_kernel10FDTD_Setup13Medium_ParamsPfPKfS3_: ; @_Z15updateHx_kernel10FDTD_Setup13Medium_ParamsPfPKfS3_
; %bb.0:
	s_load_dwordx2 s[0:1], s[4:5], 0xc4
	s_load_dwordx4 s[12:15], s[4:5], 0x0
	s_waitcnt lgkmcnt(0)
	s_lshr_b32 s2, s0, 16
	s_and_b32 s0, s0, 0xffff
	s_and_b32 s1, s1, 0xffff
	s_mul_i32 s6, s6, s0
	s_mul_i32 s7, s7, s2
	v_add_u32_e32 v0, s6, v0
	v_add_u32_e32 v1, s7, v1
	s_mul_i32 s8, s8, s1
	s_add_i32 s0, s13, -1
	v_add_u32_e32 v2, s8, v2
	v_cmp_gt_u32_e32 vcc, s12, v0
	v_cmp_gt_u32_e64 s[0:1], s0, v1
	s_add_i32 s2, s14, -1
	s_and_b64 s[0:1], vcc, s[0:1]
	v_cmp_gt_u32_e32 vcc, s2, v2
	s_and_b64 s[0:1], s[0:1], vcc
	s_and_saveexec_b64 s[2:3], s[0:1]
	s_cbranch_execz .LBB1_2
; %bb.1:
	v_mad_u64_u32 v[1:2], s[0:1], v2, s13, v[1:2]
	s_load_dwordx4 s[8:11], s[4:5], 0xa0
	v_mov_b32_e32 v4, 0
	v_mad_u64_u32 v[2:3], s[0:1], v1, s12, v[0:1]
	v_add_u32_e32 v1, s13, v1
	v_mad_u64_u32 v[0:1], s[2:3], v1, s12, v[0:1]
	v_add_u32_e32 v3, s12, v2
	v_lshlrev_b64 v[5:6], 2, v[3:4]
	s_load_dwordx2 s[0:1], s[4:5], 0xb0
	v_mov_b32_e32 v3, v4
	s_waitcnt lgkmcnt(0)
	v_mov_b32_e32 v7, s11
	v_add_co_u32_e32 v5, vcc, s10, v5
	v_lshlrev_b64 v[2:3], 2, v[2:3]
	v_addc_co_u32_e32 v6, vcc, v7, v6, vcc
	v_mov_b32_e32 v1, v4
	v_mov_b32_e32 v8, s11
	v_add_co_u32_e32 v7, vcc, s10, v2
	v_lshlrev_b64 v[0:1], 2, v[0:1]
	v_addc_co_u32_e32 v8, vcc, v8, v3, vcc
	v_mov_b32_e32 v4, s1
	v_add_co_u32_e32 v0, vcc, s0, v0
	v_addc_co_u32_e32 v1, vcc, v4, v1, vcc
	global_load_dword v9, v[5:6], off
	global_load_dword v10, v[7:8], off
	v_mov_b32_e32 v5, s1
	v_add_co_u32_e32 v4, vcc, s0, v2
	v_addc_co_u32_e32 v5, vcc, v5, v3, vcc
	global_load_dword v6, v[0:1], off
	global_load_dword v7, v[4:5], off
	s_load_dwordx2 s[0:1], s[4:5], 0x40
	s_load_dwordx2 s[2:3], s[4:5], 0x58
	s_waitcnt lgkmcnt(0)
	v_mov_b32_e32 v1, s1
	v_add_co_u32_e32 v0, vcc, s0, v2
	v_addc_co_u32_e32 v1, vcc, v1, v3, vcc
	v_mov_b32_e32 v5, s3
	v_add_co_u32_e32 v4, vcc, s2, v2
	v_addc_co_u32_e32 v5, vcc, v5, v3, vcc
	global_load_dword v8, v[0:1], off
	global_load_dword v11, v[4:5], off
	s_load_dwordx2 s[6:7], s[4:5], 0x10
	s_load_dword s10, s[4:5], 0x34
	v_mov_b32_e32 v1, s9
	v_add_co_u32_e64 v0, s[2:3], s8, v2
	v_addc_co_u32_e64 v1, s[2:3], v1, v3, s[2:3]
	global_load_dword v2, v[0:1], off
	s_waitcnt vmcnt(5)
	v_sub_f32_e32 v4, v9, v10
	s_waitcnt lgkmcnt(0)
	v_div_scale_f32 v9, vcc, v4, s6, v4
	s_waitcnt vmcnt(3)
	v_sub_f32_e32 v5, v6, v7
	v_div_scale_f32 v6, s[0:1], s6, s6, v4
	v_div_scale_f32 v7, s[0:1], s7, s7, v5
	;; [unrolled: 1-line block ×3, first 2 shown]
	v_rcp_f32_e32 v12, v6
	v_rcp_f32_e32 v13, v7
	v_fma_f32 v3, -v6, v12, 1.0
	v_fmac_f32_e32 v12, v3, v12
	v_fma_f32 v14, -v7, v13, 1.0
	v_fmac_f32_e32 v13, v14, v13
	v_mul_f32_e32 v3, v9, v12
	v_mul_f32_e32 v14, v10, v13
	v_fma_f32 v15, -v6, v3, v9
	v_fma_f32 v16, -v7, v14, v10
	v_fmac_f32_e32 v3, v15, v12
	v_fmac_f32_e32 v14, v16, v13
	v_fma_f32 v6, -v6, v3, v9
	v_fma_f32 v7, -v7, v14, v10
	v_div_fmas_f32 v3, v6, v12, v3
	s_mov_b64 vcc, s[0:1]
	v_div_fmas_f32 v6, v7, v13, v14
	s_waitcnt vmcnt(2)
	v_mul_f32_e32 v7, 0x35a8a9b8, v8
	s_waitcnt vmcnt(1)
	v_mul_f32_e32 v8, s10, v11
	v_add_f32_e32 v9, v7, v7
	v_div_scale_f32 v10, s[0:1], v9, v9, v8
	v_div_scale_f32 v11, vcc, v8, v9, v8
	v_div_fixup_f32 v3, v3, s6, v4
	v_div_fixup_f32 v4, v6, s7, v5
	v_sub_f32_e32 v3, v3, v4
	v_div_scale_f32 v4, s[0:1], v7, v7, v3
	v_div_scale_f32 v5, s[0:1], v3, v7, v3
	v_rcp_f32_e32 v6, v10
	v_fma_f32 v12, -v10, v6, 1.0
	v_fmac_f32_e32 v6, v12, v6
	v_mul_f32_e32 v12, v11, v6
	v_fma_f32 v13, -v10, v12, v11
	v_fmac_f32_e32 v12, v13, v6
	v_fma_f32 v10, -v10, v12, v11
	v_div_fmas_f32 v6, v10, v6, v12
	s_mov_b64 vcc, s[0:1]
	v_rcp_f32_e32 v13, v4
	v_fma_f32 v10, -v4, v13, 1.0
	v_fmac_f32_e32 v13, v10, v13
	v_mul_f32_e32 v10, v5, v13
	v_fma_f32 v11, -v4, v10, v5
	v_fmac_f32_e32 v10, v11, v13
	v_fma_f32 v4, -v4, v10, v5
	v_div_fmas_f32 v4, v4, v13, v10
	v_div_fixup_f32 v5, v6, v9, v8
	v_sub_f32_e32 v6, 1.0, v5
	v_add_f32_e32 v5, 1.0, v5
	v_div_fixup_f32 v3, v4, v7, v3
	v_mul_f32_e32 v3, s10, v3
	s_waitcnt vmcnt(0)
	v_fma_f32 v2, v2, v6, -v3
	v_div_scale_f32 v3, s[0:1], v5, v5, v2
	v_div_scale_f32 v4, vcc, v2, v5, v2
	v_rcp_f32_e32 v6, v3
	v_fma_f32 v7, -v3, v6, 1.0
	v_fmac_f32_e32 v6, v7, v6
	v_mul_f32_e32 v7, v4, v6
	v_fma_f32 v8, -v3, v7, v4
	v_fmac_f32_e32 v7, v8, v6
	v_fma_f32 v3, -v3, v7, v4
	v_div_fmas_f32 v3, v3, v6, v7
	v_div_fixup_f32 v2, v3, v5, v2
	global_store_dword v[0:1], v2, off
.LBB1_2:
	s_endpgm
	.section	.rodata,"a",@progbits
	.p2align	6, 0x0
	.amdhsa_kernel _Z15updateHx_kernel10FDTD_Setup13Medium_ParamsPfPKfS3_
		.amdhsa_group_segment_fixed_size 0
		.amdhsa_private_segment_fixed_size 0
		.amdhsa_kernarg_size 440
		.amdhsa_user_sgpr_count 6
		.amdhsa_user_sgpr_private_segment_buffer 1
		.amdhsa_user_sgpr_dispatch_ptr 0
		.amdhsa_user_sgpr_queue_ptr 0
		.amdhsa_user_sgpr_kernarg_segment_ptr 1
		.amdhsa_user_sgpr_dispatch_id 0
		.amdhsa_user_sgpr_flat_scratch_init 0
		.amdhsa_user_sgpr_private_segment_size 0
		.amdhsa_uses_dynamic_stack 0
		.amdhsa_system_sgpr_private_segment_wavefront_offset 0
		.amdhsa_system_sgpr_workgroup_id_x 1
		.amdhsa_system_sgpr_workgroup_id_y 1
		.amdhsa_system_sgpr_workgroup_id_z 1
		.amdhsa_system_sgpr_workgroup_info 0
		.amdhsa_system_vgpr_workitem_id 2
		.amdhsa_next_free_vgpr 17
		.amdhsa_next_free_sgpr 16
		.amdhsa_reserve_vcc 1
		.amdhsa_reserve_flat_scratch 0
		.amdhsa_float_round_mode_32 0
		.amdhsa_float_round_mode_16_64 0
		.amdhsa_float_denorm_mode_32 3
		.amdhsa_float_denorm_mode_16_64 3
		.amdhsa_dx10_clamp 1
		.amdhsa_ieee_mode 1
		.amdhsa_fp16_overflow 0
		.amdhsa_exception_fp_ieee_invalid_op 0
		.amdhsa_exception_fp_denorm_src 0
		.amdhsa_exception_fp_ieee_div_zero 0
		.amdhsa_exception_fp_ieee_overflow 0
		.amdhsa_exception_fp_ieee_underflow 0
		.amdhsa_exception_fp_ieee_inexact 0
		.amdhsa_exception_int_div_zero 0
	.end_amdhsa_kernel
	.text
.Lfunc_end1:
	.size	_Z15updateHx_kernel10FDTD_Setup13Medium_ParamsPfPKfS3_, .Lfunc_end1-_Z15updateHx_kernel10FDTD_Setup13Medium_ParamsPfPKfS3_
                                        ; -- End function
	.set _Z15updateHx_kernel10FDTD_Setup13Medium_ParamsPfPKfS3_.num_vgpr, 17
	.set _Z15updateHx_kernel10FDTD_Setup13Medium_ParamsPfPKfS3_.num_agpr, 0
	.set _Z15updateHx_kernel10FDTD_Setup13Medium_ParamsPfPKfS3_.numbered_sgpr, 16
	.set _Z15updateHx_kernel10FDTD_Setup13Medium_ParamsPfPKfS3_.num_named_barrier, 0
	.set _Z15updateHx_kernel10FDTD_Setup13Medium_ParamsPfPKfS3_.private_seg_size, 0
	.set _Z15updateHx_kernel10FDTD_Setup13Medium_ParamsPfPKfS3_.uses_vcc, 1
	.set _Z15updateHx_kernel10FDTD_Setup13Medium_ParamsPfPKfS3_.uses_flat_scratch, 0
	.set _Z15updateHx_kernel10FDTD_Setup13Medium_ParamsPfPKfS3_.has_dyn_sized_stack, 0
	.set _Z15updateHx_kernel10FDTD_Setup13Medium_ParamsPfPKfS3_.has_recursion, 0
	.set _Z15updateHx_kernel10FDTD_Setup13Medium_ParamsPfPKfS3_.has_indirect_call, 0
	.section	.AMDGPU.csdata,"",@progbits
; Kernel info:
; codeLenInByte = 828
; TotalNumSgprs: 20
; NumVgprs: 17
; ScratchSize: 0
; MemoryBound: 0
; FloatMode: 240
; IeeeMode: 1
; LDSByteSize: 0 bytes/workgroup (compile time only)
; SGPRBlocks: 2
; VGPRBlocks: 4
; NumSGPRsForWavesPerEU: 20
; NumVGPRsForWavesPerEU: 17
; Occupancy: 10
; WaveLimiterHint : 0
; COMPUTE_PGM_RSRC2:SCRATCH_EN: 0
; COMPUTE_PGM_RSRC2:USER_SGPR: 6
; COMPUTE_PGM_RSRC2:TRAP_HANDLER: 0
; COMPUTE_PGM_RSRC2:TGID_X_EN: 1
; COMPUTE_PGM_RSRC2:TGID_Y_EN: 1
; COMPUTE_PGM_RSRC2:TGID_Z_EN: 1
; COMPUTE_PGM_RSRC2:TIDIG_COMP_CNT: 2
	.text
	.protected	_Z14updateH_kernel10FDTD_SetupPfPKfS2_S0_S0_ffjjjjj ; -- Begin function _Z14updateH_kernel10FDTD_SetupPfPKfS2_S0_S0_ffjjjjj
	.globl	_Z14updateH_kernel10FDTD_SetupPfPKfS2_S0_S0_ffjjjjj
	.p2align	8
	.type	_Z14updateH_kernel10FDTD_SetupPfPKfS2_S0_S0_ffjjjjj,@function
_Z14updateH_kernel10FDTD_SetupPfPKfS2_S0_S0_ffjjjjj: ; @_Z14updateH_kernel10FDTD_SetupPfPKfS2_S0_S0_ffjjjjj
; %bb.0:
	s_load_dwordx2 s[10:11], s[4:5], 0x94
	s_load_dwordx4 s[0:3], s[4:5], 0x78
	s_waitcnt lgkmcnt(0)
	s_lshr_b32 s9, s10, 16
	s_and_b32 s10, s10, 0xffff
	s_and_b32 s3, s11, 0xffff
	s_mul_i32 s6, s6, s10
	s_mul_i32 s7, s7, s9
	v_add_u32_e32 v0, s6, v0
	v_add_u32_e32 v1, s7, v1
	s_mul_i32 s8, s8, s3
	v_add_u32_e32 v2, s8, v2
	v_cmp_gt_u32_e32 vcc, s0, v0
	v_cmp_gt_u32_e64 s[0:1], s1, v1
	s_and_b64 s[0:1], vcc, s[0:1]
	v_cmp_gt_u32_e32 vcc, s2, v2
	s_and_b64 s[0:1], s[0:1], vcc
	s_and_saveexec_b64 s[2:3], s[0:1]
	s_cbranch_execz .LBB2_2
; %bb.1:
	s_load_dwordx2 s[0:1], s[4:5], 0x0
	s_load_dword s6, s[4:5], 0x34
	s_load_dwordx4 s[16:19], s[4:5], 0x68
	s_load_dwordx8 s[8:15], s[4:5], 0x40
	s_waitcnt lgkmcnt(0)
	v_mad_u64_u32 v[1:2], s[2:3], s1, v2, v[1:2]
	v_mov_b32_e32 v2, 0
	v_mov_b32_e32 v5, s11
	v_mad_u64_u32 v[0:1], s[0:1], v1, s0, v[0:1]
	s_load_dwordx2 s[0:1], s[4:5], 0x60
	v_add_u32_e32 v1, s18, v0
	v_lshlrev_b64 v[3:4], 2, v[1:2]
	v_mov_b32_e32 v1, v2
	v_add_co_u32_e32 v3, vcc, s10, v3
	v_addc_co_u32_e32 v4, vcc, v5, v4, vcc
	v_lshlrev_b64 v[5:6], 2, v[0:1]
	v_mov_b32_e32 v1, s11
	v_add_co_u32_e32 v7, vcc, s10, v5
	v_addc_co_u32_e32 v8, vcc, v1, v6, vcc
	v_add_u32_e32 v1, s19, v0
	v_lshlrev_b64 v[0:1], 2, v[1:2]
	v_mov_b32_e32 v2, s13
	v_add_co_u32_e32 v0, vcc, s12, v0
	v_addc_co_u32_e32 v1, vcc, v2, v1, vcc
	global_load_dword v9, v[3:4], off
	global_load_dword v10, v[7:8], off
	v_mov_b32_e32 v3, s13
	v_add_co_u32_e32 v2, vcc, s12, v5
	v_addc_co_u32_e32 v3, vcc, v3, v6, vcc
	global_load_dword v4, v[0:1], off
	global_load_dword v7, v[2:3], off
	v_mov_b32_e32 v1, s15
	v_add_co_u32_e32 v0, vcc, s14, v5
	v_addc_co_u32_e32 v1, vcc, v1, v6, vcc
	s_waitcnt lgkmcnt(0)
	v_mov_b32_e32 v3, s1
	v_add_co_u32_e32 v2, vcc, s0, v5
	v_addc_co_u32_e32 v3, vcc, v3, v6, vcc
	global_load_dword v8, v[0:1], off
	global_load_dword v11, v[2:3], off
	v_mov_b32_e32 v1, s9
	v_add_co_u32_e64 v0, s[2:3], s8, v5
	v_addc_co_u32_e64 v1, s[2:3], v1, v6, s[2:3]
	global_load_dword v6, v[0:1], off
	s_waitcnt vmcnt(5)
	v_sub_f32_e32 v2, v9, v10
	v_div_scale_f32 v3, s[0:1], s17, s17, v2
	v_div_scale_f32 v9, vcc, v2, s17, v2
	s_waitcnt vmcnt(3)
	v_sub_f32_e32 v4, v4, v7
	v_div_scale_f32 v7, s[0:1], s16, s16, v4
	v_div_scale_f32 v10, s[0:1], v4, s16, v4
	v_rcp_f32_e32 v12, v3
	v_fma_f32 v13, -v3, v12, 1.0
	v_fmac_f32_e32 v12, v13, v12
	v_rcp_f32_e32 v5, v7
	v_mul_f32_e32 v14, v9, v12
	v_fma_f32 v13, -v7, v5, 1.0
	v_fmac_f32_e32 v5, v13, v5
	v_fma_f32 v13, -v3, v14, v9
	v_mul_f32_e32 v15, v10, v5
	v_fmac_f32_e32 v14, v13, v12
	v_fma_f32 v13, -v7, v15, v10
	v_fma_f32 v3, -v3, v14, v9
	v_fmac_f32_e32 v15, v13, v5
	v_div_fmas_f32 v3, v3, v12, v14
	v_fma_f32 v7, -v7, v15, v10
	s_mov_b64 vcc, s[0:1]
	v_div_fmas_f32 v5, v7, v5, v15
	s_waitcnt vmcnt(2)
	v_mul_f32_e32 v7, 0x35a8a9b8, v8
	s_waitcnt vmcnt(1)
	v_mul_f32_e32 v8, s6, v11
	v_add_f32_e32 v9, v7, v7
	v_div_scale_f32 v10, s[0:1], v9, v9, v8
	v_div_scale_f32 v11, vcc, v8, v9, v8
	v_div_fixup_f32 v2, v3, s17, v2
	v_div_fixup_f32 v3, v5, s16, v4
	v_sub_f32_e32 v2, v2, v3
	v_div_scale_f32 v3, s[0:1], v7, v7, v2
	v_div_scale_f32 v4, s[0:1], v2, v7, v2
	v_rcp_f32_e32 v5, v10
	v_fma_f32 v12, -v10, v5, 1.0
	v_fmac_f32_e32 v5, v12, v5
	v_mul_f32_e32 v12, v11, v5
	v_fma_f32 v13, -v10, v12, v11
	v_fmac_f32_e32 v12, v13, v5
	v_fma_f32 v10, -v10, v12, v11
	v_div_fmas_f32 v5, v10, v5, v12
	s_mov_b64 vcc, s[0:1]
	v_rcp_f32_e32 v13, v3
	v_fma_f32 v10, -v3, v13, 1.0
	v_fmac_f32_e32 v13, v10, v13
	v_mul_f32_e32 v10, v4, v13
	v_fma_f32 v11, -v3, v10, v4
	v_fmac_f32_e32 v10, v11, v13
	v_fma_f32 v3, -v3, v10, v4
	v_div_fmas_f32 v3, v3, v13, v10
	v_div_fixup_f32 v4, v5, v9, v8
	v_sub_f32_e32 v5, 1.0, v4
	v_add_f32_e32 v4, 1.0, v4
	v_div_fixup_f32 v2, v3, v7, v2
	v_mul_f32_e32 v2, s6, v2
	s_waitcnt vmcnt(0)
	v_fma_f32 v2, v6, v5, -v2
	v_div_scale_f32 v3, s[0:1], v4, v4, v2
	v_div_scale_f32 v5, vcc, v2, v4, v2
	v_rcp_f32_e32 v6, v3
	v_fma_f32 v7, -v3, v6, 1.0
	v_fmac_f32_e32 v6, v7, v6
	v_mul_f32_e32 v7, v5, v6
	v_fma_f32 v8, -v3, v7, v5
	v_fmac_f32_e32 v7, v8, v6
	v_fma_f32 v3, -v3, v7, v5
	v_div_fmas_f32 v3, v3, v6, v7
	v_div_fixup_f32 v2, v3, v4, v2
	global_store_dword v[0:1], v2, off
.LBB2_2:
	s_endpgm
	.section	.rodata,"a",@progbits
	.p2align	6, 0x0
	.amdhsa_kernel _Z14updateH_kernel10FDTD_SetupPfPKfS2_S0_S0_ffjjjjj
		.amdhsa_group_segment_fixed_size 0
		.amdhsa_private_segment_fixed_size 0
		.amdhsa_kernarg_size 392
		.amdhsa_user_sgpr_count 6
		.amdhsa_user_sgpr_private_segment_buffer 1
		.amdhsa_user_sgpr_dispatch_ptr 0
		.amdhsa_user_sgpr_queue_ptr 0
		.amdhsa_user_sgpr_kernarg_segment_ptr 1
		.amdhsa_user_sgpr_dispatch_id 0
		.amdhsa_user_sgpr_flat_scratch_init 0
		.amdhsa_user_sgpr_private_segment_size 0
		.amdhsa_uses_dynamic_stack 0
		.amdhsa_system_sgpr_private_segment_wavefront_offset 0
		.amdhsa_system_sgpr_workgroup_id_x 1
		.amdhsa_system_sgpr_workgroup_id_y 1
		.amdhsa_system_sgpr_workgroup_id_z 1
		.amdhsa_system_sgpr_workgroup_info 0
		.amdhsa_system_vgpr_workitem_id 2
		.amdhsa_next_free_vgpr 16
		.amdhsa_next_free_sgpr 20
		.amdhsa_reserve_vcc 1
		.amdhsa_reserve_flat_scratch 0
		.amdhsa_float_round_mode_32 0
		.amdhsa_float_round_mode_16_64 0
		.amdhsa_float_denorm_mode_32 3
		.amdhsa_float_denorm_mode_16_64 3
		.amdhsa_dx10_clamp 1
		.amdhsa_ieee_mode 1
		.amdhsa_fp16_overflow 0
		.amdhsa_exception_fp_ieee_invalid_op 0
		.amdhsa_exception_fp_denorm_src 0
		.amdhsa_exception_fp_ieee_div_zero 0
		.amdhsa_exception_fp_ieee_overflow 0
		.amdhsa_exception_fp_ieee_underflow 0
		.amdhsa_exception_fp_ieee_inexact 0
		.amdhsa_exception_int_div_zero 0
	.end_amdhsa_kernel
	.text
.Lfunc_end2:
	.size	_Z14updateH_kernel10FDTD_SetupPfPKfS2_S0_S0_ffjjjjj, .Lfunc_end2-_Z14updateH_kernel10FDTD_SetupPfPKfS2_S0_S0_ffjjjjj
                                        ; -- End function
	.set _Z14updateH_kernel10FDTD_SetupPfPKfS2_S0_S0_ffjjjjj.num_vgpr, 16
	.set _Z14updateH_kernel10FDTD_SetupPfPKfS2_S0_S0_ffjjjjj.num_agpr, 0
	.set _Z14updateH_kernel10FDTD_SetupPfPKfS2_S0_S0_ffjjjjj.numbered_sgpr, 20
	.set _Z14updateH_kernel10FDTD_SetupPfPKfS2_S0_S0_ffjjjjj.num_named_barrier, 0
	.set _Z14updateH_kernel10FDTD_SetupPfPKfS2_S0_S0_ffjjjjj.private_seg_size, 0
	.set _Z14updateH_kernel10FDTD_SetupPfPKfS2_S0_S0_ffjjjjj.uses_vcc, 1
	.set _Z14updateH_kernel10FDTD_SetupPfPKfS2_S0_S0_ffjjjjj.uses_flat_scratch, 0
	.set _Z14updateH_kernel10FDTD_SetupPfPKfS2_S0_S0_ffjjjjj.has_dyn_sized_stack, 0
	.set _Z14updateH_kernel10FDTD_SetupPfPKfS2_S0_S0_ffjjjjj.has_recursion, 0
	.set _Z14updateH_kernel10FDTD_SetupPfPKfS2_S0_S0_ffjjjjj.has_indirect_call, 0
	.section	.AMDGPU.csdata,"",@progbits
; Kernel info:
; codeLenInByte = 796
; TotalNumSgprs: 24
; NumVgprs: 16
; ScratchSize: 0
; MemoryBound: 0
; FloatMode: 240
; IeeeMode: 1
; LDSByteSize: 0 bytes/workgroup (compile time only)
; SGPRBlocks: 2
; VGPRBlocks: 3
; NumSGPRsForWavesPerEU: 24
; NumVGPRsForWavesPerEU: 16
; Occupancy: 10
; WaveLimiterHint : 0
; COMPUTE_PGM_RSRC2:SCRATCH_EN: 0
; COMPUTE_PGM_RSRC2:USER_SGPR: 6
; COMPUTE_PGM_RSRC2:TRAP_HANDLER: 0
; COMPUTE_PGM_RSRC2:TGID_X_EN: 1
; COMPUTE_PGM_RSRC2:TGID_Y_EN: 1
; COMPUTE_PGM_RSRC2:TGID_Z_EN: 1
; COMPUTE_PGM_RSRC2:TIDIG_COMP_CNT: 2
	.text
	.protected	_Z15updateEx_kernel10FDTD_Setup13Medium_ParamsPfPKfS3_ ; -- Begin function _Z15updateEx_kernel10FDTD_Setup13Medium_ParamsPfPKfS3_
	.globl	_Z15updateEx_kernel10FDTD_Setup13Medium_ParamsPfPKfS3_
	.p2align	8
	.type	_Z15updateEx_kernel10FDTD_Setup13Medium_ParamsPfPKfS3_,@function
_Z15updateEx_kernel10FDTD_Setup13Medium_ParamsPfPKfS3_: ; @_Z15updateEx_kernel10FDTD_Setup13Medium_ParamsPfPKfS3_
; %bb.0:
	s_load_dwordx2 s[0:1], s[4:5], 0xc4
	s_load_dwordx4 s[12:15], s[4:5], 0x0
	s_waitcnt lgkmcnt(0)
	s_lshr_b32 s2, s0, 16
	s_and_b32 s0, s0, 0xffff
	s_and_b32 s1, s1, 0xffff
	s_mul_i32 s6, s6, s0
	s_mul_i32 s7, s7, s2
	v_add_u32_e32 v0, s6, v0
	v_add_u32_e32 v1, s7, v1
	s_mul_i32 s8, s8, s1
	s_add_i32 s0, s12, -1
	v_add_u32_e32 v2, s8, v2
	v_cmp_gt_u32_e32 vcc, s0, v0
	v_cmp_gt_u32_e64 s[0:1], s13, v1
	s_and_b64 s[0:1], vcc, s[0:1]
	v_cmp_gt_u32_e32 vcc, s14, v2
	s_and_b64 s[0:1], s[0:1], vcc
	s_and_saveexec_b64 s[2:3], s[0:1]
	s_cbranch_execz .LBB3_2
; %bb.1:
	v_mul_lo_u32 v3, v2, s13
	v_max_i32_e32 v4, 1, v1
	s_load_dwordx2 s[0:1], s[4:5], 0xb0
	s_load_dwordx4 s[8:11], s[4:5], 0xa0
	s_load_dwordx2 s[6:7], s[4:5], 0x10
	v_add_u32_e32 v5, v3, v1
	v_add3_u32 v3, v4, v3, -1
	v_mad_u64_u32 v[3:4], s[2:3], v3, s12, v[0:1]
	v_mad_u64_u32 v[5:6], s[2:3], v5, s12, v[0:1]
	v_mov_b32_e32 v4, 0
	v_lshlrev_b64 v[6:7], 2, v[3:4]
	s_waitcnt lgkmcnt(0)
	v_mov_b32_e32 v3, s11
	v_add_co_u32_e32 v8, vcc, s10, v6
	v_mov_b32_e32 v6, v4
	v_lshlrev_b64 v[5:6], 2, v[5:6]
	v_addc_co_u32_e32 v9, vcc, v3, v7, vcc
	v_add_co_u32_e32 v10, vcc, s10, v5
	v_addc_co_u32_e32 v11, vcc, v3, v6, vcc
	v_max_i32_e32 v3, 1, v2
	v_add_u32_e32 v3, -1, v3
	v_mad_u64_u32 v[12:13], s[2:3], v3, s13, v[1:2]
	global_load_dword v13, v[8:9], off
	global_load_dword v14, v[10:11], off
	v_mad_u64_u32 v[7:8], s[2:3], v12, s12, v[0:1]
	s_add_i32 s2, s14, -2
	v_min_u32_e32 v2, s2, v2
	v_mad_u64_u32 v[1:2], s[2:3], v2, s13, v[1:2]
	v_mov_b32_e32 v8, v4
	v_lshlrev_b64 v[2:3], 2, v[7:8]
	v_mad_u64_u32 v[0:1], s[2:3], v1, s12, v[0:1]
	v_mov_b32_e32 v1, v4
	v_mov_b32_e32 v7, s1
	v_add_co_u32_e32 v2, vcc, s0, v2
	v_lshlrev_b64 v[0:1], 2, v[0:1]
	v_addc_co_u32_e32 v3, vcc, v7, v3, vcc
	v_mov_b32_e32 v4, s1
	v_add_co_u32_e32 v0, vcc, s0, v0
	v_addc_co_u32_e32 v1, vcc, v4, v1, vcc
	global_load_dword v4, v[2:3], off
	global_load_dword v7, v[0:1], off
	s_load_dwordx2 s[0:1], s[4:5], 0x70
	s_load_dwordx2 s[2:3], s[4:5], 0x88
	s_load_dword s10, s[4:5], 0x34
	s_waitcnt lgkmcnt(0)
	v_mov_b32_e32 v1, s1
	v_add_co_u32_e32 v0, vcc, s0, v5
	v_addc_co_u32_e32 v1, vcc, v1, v6, vcc
	global_load_dword v2, v[0:1], off
	v_mov_b32_e32 v1, s3
	v_add_co_u32_e32 v0, vcc, s2, v5
	v_addc_co_u32_e32 v1, vcc, v1, v6, vcc
	global_load_dword v3, v[0:1], off
	v_mov_b32_e32 v1, s9
	v_add_co_u32_e64 v0, s[2:3], s8, v5
	v_addc_co_u32_e64 v1, s[2:3], v1, v6, s[2:3]
	global_load_dword v5, v[0:1], off
	s_waitcnt vmcnt(5)
	v_sub_f32_e32 v8, v14, v13
	v_div_scale_f32 v9, s[0:1], s6, s6, v8
	v_div_scale_f32 v10, vcc, v8, s6, v8
	v_rcp_f32_e32 v6, v9
	v_fma_f32 v13, -v9, v6, 1.0
	v_fmac_f32_e32 v6, v13, v6
	v_mul_f32_e32 v14, v10, v6
	s_waitcnt vmcnt(3)
	v_sub_f32_e32 v4, v7, v4
	v_div_scale_f32 v7, s[0:1], s7, s7, v4
	v_div_scale_f32 v11, s[0:1], v4, s7, v4
	s_waitcnt vmcnt(2)
	v_mul_f32_e32 v2, 0x2d1bc3b8, v2
	s_waitcnt vmcnt(1)
	v_mul_f32_e32 v3, s10, v3
	v_rcp_f32_e32 v12, v7
	v_fma_f32 v13, -v7, v12, 1.0
	v_fmac_f32_e32 v12, v13, v12
	v_fma_f32 v13, -v9, v14, v10
	v_mul_f32_e32 v15, v11, v12
	v_fmac_f32_e32 v14, v13, v6
	v_fma_f32 v13, -v7, v15, v11
	v_fma_f32 v9, -v9, v14, v10
	v_fmac_f32_e32 v15, v13, v12
	v_div_fmas_f32 v6, v9, v6, v14
	v_fma_f32 v7, -v7, v15, v11
	s_mov_b64 vcc, s[0:1]
	v_div_fmas_f32 v7, v7, v12, v15
	v_add_f32_e32 v9, v2, v2
	v_div_scale_f32 v10, s[0:1], v9, v9, v3
	v_div_scale_f32 v11, vcc, v3, v9, v3
	v_div_fixup_f32 v6, v6, s6, v8
	v_div_fixup_f32 v4, v7, s7, v4
	v_sub_f32_e32 v4, v6, v4
	v_div_scale_f32 v6, s[0:1], v2, v2, v4
	v_div_scale_f32 v7, s[0:1], v4, v2, v4
	v_rcp_f32_e32 v8, v10
	v_fma_f32 v12, -v10, v8, 1.0
	v_fmac_f32_e32 v8, v12, v8
	v_mul_f32_e32 v12, v11, v8
	v_fma_f32 v13, -v10, v12, v11
	v_fmac_f32_e32 v12, v13, v8
	v_fma_f32 v10, -v10, v12, v11
	v_div_fmas_f32 v8, v10, v8, v12
	s_mov_b64 vcc, s[0:1]
	v_rcp_f32_e32 v13, v6
	v_fma_f32 v10, -v6, v13, 1.0
	v_fmac_f32_e32 v13, v10, v13
	v_mul_f32_e32 v10, v7, v13
	v_fma_f32 v11, -v6, v10, v7
	v_fmac_f32_e32 v10, v11, v13
	v_fma_f32 v6, -v6, v10, v7
	v_div_fmas_f32 v6, v6, v13, v10
	v_div_fixup_f32 v3, v8, v9, v3
	v_sub_f32_e32 v7, 1.0, v3
	s_waitcnt vmcnt(0)
	v_mul_f32_e32 v5, v5, v7
	v_add_f32_e32 v3, 1.0, v3
	v_div_fixup_f32 v2, v6, v2, v4
	v_fmac_f32_e32 v5, s10, v2
	v_div_scale_f32 v2, s[0:1], v3, v3, v5
	v_div_scale_f32 v4, vcc, v5, v3, v5
	v_rcp_f32_e32 v6, v2
	v_fma_f32 v7, -v2, v6, 1.0
	v_fmac_f32_e32 v6, v7, v6
	v_mul_f32_e32 v7, v4, v6
	v_fma_f32 v8, -v2, v7, v4
	v_fmac_f32_e32 v7, v8, v6
	v_fma_f32 v2, -v2, v7, v4
	v_div_fmas_f32 v2, v2, v6, v7
	v_div_fixup_f32 v2, v2, v3, v5
	global_store_dword v[0:1], v2, off
.LBB3_2:
	s_endpgm
	.section	.rodata,"a",@progbits
	.p2align	6, 0x0
	.amdhsa_kernel _Z15updateEx_kernel10FDTD_Setup13Medium_ParamsPfPKfS3_
		.amdhsa_group_segment_fixed_size 0
		.amdhsa_private_segment_fixed_size 0
		.amdhsa_kernarg_size 440
		.amdhsa_user_sgpr_count 6
		.amdhsa_user_sgpr_private_segment_buffer 1
		.amdhsa_user_sgpr_dispatch_ptr 0
		.amdhsa_user_sgpr_queue_ptr 0
		.amdhsa_user_sgpr_kernarg_segment_ptr 1
		.amdhsa_user_sgpr_dispatch_id 0
		.amdhsa_user_sgpr_flat_scratch_init 0
		.amdhsa_user_sgpr_private_segment_size 0
		.amdhsa_uses_dynamic_stack 0
		.amdhsa_system_sgpr_private_segment_wavefront_offset 0
		.amdhsa_system_sgpr_workgroup_id_x 1
		.amdhsa_system_sgpr_workgroup_id_y 1
		.amdhsa_system_sgpr_workgroup_id_z 1
		.amdhsa_system_sgpr_workgroup_info 0
		.amdhsa_system_vgpr_workitem_id 2
		.amdhsa_next_free_vgpr 16
		.amdhsa_next_free_sgpr 16
		.amdhsa_reserve_vcc 1
		.amdhsa_reserve_flat_scratch 0
		.amdhsa_float_round_mode_32 0
		.amdhsa_float_round_mode_16_64 0
		.amdhsa_float_denorm_mode_32 3
		.amdhsa_float_denorm_mode_16_64 3
		.amdhsa_dx10_clamp 1
		.amdhsa_ieee_mode 1
		.amdhsa_fp16_overflow 0
		.amdhsa_exception_fp_ieee_invalid_op 0
		.amdhsa_exception_fp_denorm_src 0
		.amdhsa_exception_fp_ieee_div_zero 0
		.amdhsa_exception_fp_ieee_overflow 0
		.amdhsa_exception_fp_ieee_underflow 0
		.amdhsa_exception_fp_ieee_inexact 0
		.amdhsa_exception_int_div_zero 0
	.end_amdhsa_kernel
	.text
.Lfunc_end3:
	.size	_Z15updateEx_kernel10FDTD_Setup13Medium_ParamsPfPKfS3_, .Lfunc_end3-_Z15updateEx_kernel10FDTD_Setup13Medium_ParamsPfPKfS3_
                                        ; -- End function
	.set _Z15updateEx_kernel10FDTD_Setup13Medium_ParamsPfPKfS3_.num_vgpr, 16
	.set _Z15updateEx_kernel10FDTD_Setup13Medium_ParamsPfPKfS3_.num_agpr, 0
	.set _Z15updateEx_kernel10FDTD_Setup13Medium_ParamsPfPKfS3_.numbered_sgpr, 16
	.set _Z15updateEx_kernel10FDTD_Setup13Medium_ParamsPfPKfS3_.num_named_barrier, 0
	.set _Z15updateEx_kernel10FDTD_Setup13Medium_ParamsPfPKfS3_.private_seg_size, 0
	.set _Z15updateEx_kernel10FDTD_Setup13Medium_ParamsPfPKfS3_.uses_vcc, 1
	.set _Z15updateEx_kernel10FDTD_Setup13Medium_ParamsPfPKfS3_.uses_flat_scratch, 0
	.set _Z15updateEx_kernel10FDTD_Setup13Medium_ParamsPfPKfS3_.has_dyn_sized_stack, 0
	.set _Z15updateEx_kernel10FDTD_Setup13Medium_ParamsPfPKfS3_.has_recursion, 0
	.set _Z15updateEx_kernel10FDTD_Setup13Medium_ParamsPfPKfS3_.has_indirect_call, 0
	.section	.AMDGPU.csdata,"",@progbits
; Kernel info:
; codeLenInByte = 880
; TotalNumSgprs: 20
; NumVgprs: 16
; ScratchSize: 0
; MemoryBound: 0
; FloatMode: 240
; IeeeMode: 1
; LDSByteSize: 0 bytes/workgroup (compile time only)
; SGPRBlocks: 2
; VGPRBlocks: 3
; NumSGPRsForWavesPerEU: 20
; NumVGPRsForWavesPerEU: 16
; Occupancy: 10
; WaveLimiterHint : 0
; COMPUTE_PGM_RSRC2:SCRATCH_EN: 0
; COMPUTE_PGM_RSRC2:USER_SGPR: 6
; COMPUTE_PGM_RSRC2:TRAP_HANDLER: 0
; COMPUTE_PGM_RSRC2:TGID_X_EN: 1
; COMPUTE_PGM_RSRC2:TGID_Y_EN: 1
; COMPUTE_PGM_RSRC2:TGID_Z_EN: 1
; COMPUTE_PGM_RSRC2:TIDIG_COMP_CNT: 2
	.text
	.protected	_Z15updateEy_kernel10FDTD_Setup13Medium_ParamsPfPKfS3_ ; -- Begin function _Z15updateEy_kernel10FDTD_Setup13Medium_ParamsPfPKfS3_
	.globl	_Z15updateEy_kernel10FDTD_Setup13Medium_ParamsPfPKfS3_
	.p2align	8
	.type	_Z15updateEy_kernel10FDTD_Setup13Medium_ParamsPfPKfS3_,@function
_Z15updateEy_kernel10FDTD_Setup13Medium_ParamsPfPKfS3_: ; @_Z15updateEy_kernel10FDTD_Setup13Medium_ParamsPfPKfS3_
; %bb.0:
	s_load_dwordx2 s[0:1], s[4:5], 0xc4
	s_load_dwordx4 s[12:15], s[4:5], 0x0
	s_waitcnt lgkmcnt(0)
	s_and_b32 s1, s1, 0xffff
	s_lshr_b32 s2, s0, 16
	s_and_b32 s0, s0, 0xffff
	s_mul_i32 s7, s7, s2
	s_mul_i32 s8, s8, s1
	;; [unrolled: 1-line block ×3, first 2 shown]
	v_add_u32_e32 v1, s7, v1
	v_add_u32_e32 v2, s8, v2
	s_add_i32 s0, s13, -1
	v_add_u32_e32 v0, s6, v0
	v_cmp_gt_u32_e64 s[0:1], s0, v1
	v_cmp_gt_u32_e64 s[2:3], s14, v2
	v_cmp_gt_u32_e32 vcc, s12, v0
	s_and_b64 s[0:1], s[0:1], s[2:3]
	s_and_b64 s[0:1], vcc, s[0:1]
	s_and_saveexec_b64 s[2:3], s[0:1]
	s_cbranch_execz .LBB4_2
; %bb.1:
	v_mad_u64_u32 v[3:4], s[0:1], v2, s13, v[1:2]
	s_load_dwordx4 s[8:11], s[4:5], 0xa0
	s_load_dwordx2 s[0:1], s[4:5], 0xb0
	v_mul_lo_u32 v10, v3, s12
	v_max_i32_e32 v3, 1, v2
	v_add_u32_e32 v4, -1, v3
	v_mad_u64_u32 v[5:6], s[2:3], v4, s13, v[1:2]
	v_mov_b32_e32 v4, 0
	v_add_u32_e32 v3, v10, v0
	v_mad_u64_u32 v[8:9], s[2:3], v5, s12, v[0:1]
	s_add_i32 s2, s14, -2
	v_min_u32_e32 v2, s2, v2
	v_mad_u64_u32 v[1:2], s[2:3], v2, s13, v[1:2]
	v_mov_b32_e32 v9, v4
	v_lshlrev_b64 v[6:7], 2, v[3:4]
	v_lshlrev_b64 v[2:3], 2, v[8:9]
	v_mad_u64_u32 v[8:9], s[2:3], v1, s12, v[0:1]
	v_mov_b32_e32 v9, v4
	s_waitcnt lgkmcnt(0)
	v_mov_b32_e32 v5, s11
	v_add_co_u32_e32 v1, vcc, s10, v2
	v_lshlrev_b64 v[8:9], 2, v[8:9]
	v_addc_co_u32_e32 v2, vcc, v5, v3, vcc
	v_mov_b32_e32 v3, s11
	v_add_co_u32_e32 v8, vcc, s10, v8
	v_addc_co_u32_e32 v9, vcc, v3, v9, vcc
	global_load_dword v5, v[1:2], off
	global_load_dword v11, v[8:9], off
	v_max_i32_e32 v1, 1, v0
	v_add3_u32 v3, v1, v10, -1
	v_lshlrev_b64 v[1:2], 2, v[3:4]
	s_add_i32 s2, s12, -2
	v_mov_b32_e32 v3, s1
	v_add_co_u32_e32 v1, vcc, s0, v1
	v_min_u32_e32 v0, s2, v0
	v_addc_co_u32_e32 v2, vcc, v3, v2, vcc
	v_add_u32_e32 v3, v10, v0
	v_lshlrev_b64 v[3:4], 2, v[3:4]
	v_mov_b32_e32 v0, s1
	v_add_co_u32_e32 v3, vcc, s0, v3
	v_addc_co_u32_e32 v4, vcc, v0, v4, vcc
	global_load_dword v8, v[1:2], off
	global_load_dword v9, v[3:4], off
	s_load_dwordx2 s[0:1], s[4:5], 0x78
	s_load_dwordx2 s[2:3], s[4:5], 0x90
	s_load_dword s6, s[4:5], 0x34
	s_waitcnt lgkmcnt(0)
	v_mov_b32_e32 v1, s1
	v_add_co_u32_e32 v0, vcc, s0, v6
	v_addc_co_u32_e32 v1, vcc, v1, v7, vcc
	global_load_dword v2, v[0:1], off
	v_mov_b32_e32 v1, s3
	v_add_co_u32_e32 v0, vcc, s2, v6
	v_addc_co_u32_e32 v1, vcc, v1, v7, vcc
	global_load_dword v3, v[0:1], off
	s_load_dword s4, s[4:5], 0x14
	v_mov_b32_e32 v1, s9
	v_add_co_u32_e64 v0, s[2:3], s8, v6
	v_addc_co_u32_e64 v1, s[2:3], v1, v7, s[2:3]
	global_load_dword v7, v[0:1], off
	s_waitcnt vmcnt(5)
	v_sub_f32_e32 v4, v11, v5
	s_waitcnt lgkmcnt(0)
	v_div_scale_f32 v5, s[0:1], s4, s4, v4
	v_div_scale_f32 v10, vcc, v4, s4, v4
	v_rcp_f32_e32 v12, v5
	s_waitcnt vmcnt(3)
	v_sub_f32_e32 v8, v9, v8
	v_div_scale_f32 v9, s[0:1], s15, s15, v8
	v_div_scale_f32 v11, s[0:1], v8, s15, v8
	v_fma_f32 v13, -v5, v12, 1.0
	v_fmac_f32_e32 v12, v13, v12
	v_mul_f32_e32 v14, v10, v12
	s_waitcnt vmcnt(2)
	v_mul_f32_e32 v2, 0x2d1bc3b8, v2
	s_waitcnt vmcnt(1)
	v_mul_f32_e32 v3, s6, v3
	v_rcp_f32_e32 v6, v9
	v_fma_f32 v13, -v9, v6, 1.0
	v_fmac_f32_e32 v6, v13, v6
	v_fma_f32 v13, -v5, v14, v10
	v_mul_f32_e32 v15, v11, v6
	v_fmac_f32_e32 v14, v13, v12
	v_fma_f32 v13, -v9, v15, v11
	v_fma_f32 v5, -v5, v14, v10
	v_fmac_f32_e32 v15, v13, v6
	v_div_fmas_f32 v5, v5, v12, v14
	v_fma_f32 v9, -v9, v15, v11
	s_mov_b64 vcc, s[0:1]
	v_div_fmas_f32 v6, v9, v6, v15
	v_add_f32_e32 v9, v2, v2
	v_div_scale_f32 v10, s[0:1], v9, v9, v3
	v_div_scale_f32 v11, vcc, v3, v9, v3
	v_div_fixup_f32 v4, v5, s4, v4
	v_div_fixup_f32 v5, v6, s15, v8
	v_sub_f32_e32 v4, v4, v5
	v_div_scale_f32 v5, s[0:1], v2, v2, v4
	v_div_scale_f32 v6, s[0:1], v4, v2, v4
	v_rcp_f32_e32 v8, v10
	v_fma_f32 v12, -v10, v8, 1.0
	v_fmac_f32_e32 v8, v12, v8
	v_mul_f32_e32 v12, v11, v8
	v_fma_f32 v13, -v10, v12, v11
	v_fmac_f32_e32 v12, v13, v8
	v_fma_f32 v10, -v10, v12, v11
	v_div_fmas_f32 v8, v10, v8, v12
	s_mov_b64 vcc, s[0:1]
	v_rcp_f32_e32 v13, v5
	v_fma_f32 v10, -v5, v13, 1.0
	v_fmac_f32_e32 v13, v10, v13
	v_mul_f32_e32 v10, v6, v13
	v_fma_f32 v11, -v5, v10, v6
	v_fmac_f32_e32 v10, v11, v13
	v_fma_f32 v5, -v5, v10, v6
	v_div_fmas_f32 v5, v5, v13, v10
	v_div_fixup_f32 v3, v8, v9, v3
	v_sub_f32_e32 v6, 1.0, v3
	v_add_f32_e32 v3, 1.0, v3
	v_div_fixup_f32 v2, v5, v2, v4
	v_mul_f32_e32 v2, s6, v2
	s_waitcnt vmcnt(0)
	v_fmac_f32_e32 v2, v6, v7
	v_div_scale_f32 v4, s[0:1], v3, v3, v2
	v_div_scale_f32 v5, vcc, v2, v3, v2
	v_rcp_f32_e32 v6, v4
	v_fma_f32 v7, -v4, v6, 1.0
	v_fmac_f32_e32 v6, v7, v6
	v_mul_f32_e32 v7, v5, v6
	v_fma_f32 v8, -v4, v7, v5
	v_fmac_f32_e32 v7, v8, v6
	v_fma_f32 v4, -v4, v7, v5
	v_div_fmas_f32 v4, v4, v6, v7
	v_div_fixup_f32 v2, v4, v3, v2
	global_store_dword v[0:1], v2, off
.LBB4_2:
	s_endpgm
	.section	.rodata,"a",@progbits
	.p2align	6, 0x0
	.amdhsa_kernel _Z15updateEy_kernel10FDTD_Setup13Medium_ParamsPfPKfS3_
		.amdhsa_group_segment_fixed_size 0
		.amdhsa_private_segment_fixed_size 0
		.amdhsa_kernarg_size 440
		.amdhsa_user_sgpr_count 6
		.amdhsa_user_sgpr_private_segment_buffer 1
		.amdhsa_user_sgpr_dispatch_ptr 0
		.amdhsa_user_sgpr_queue_ptr 0
		.amdhsa_user_sgpr_kernarg_segment_ptr 1
		.amdhsa_user_sgpr_dispatch_id 0
		.amdhsa_user_sgpr_flat_scratch_init 0
		.amdhsa_user_sgpr_private_segment_size 0
		.amdhsa_uses_dynamic_stack 0
		.amdhsa_system_sgpr_private_segment_wavefront_offset 0
		.amdhsa_system_sgpr_workgroup_id_x 1
		.amdhsa_system_sgpr_workgroup_id_y 1
		.amdhsa_system_sgpr_workgroup_id_z 1
		.amdhsa_system_sgpr_workgroup_info 0
		.amdhsa_system_vgpr_workitem_id 2
		.amdhsa_next_free_vgpr 16
		.amdhsa_next_free_sgpr 16
		.amdhsa_reserve_vcc 1
		.amdhsa_reserve_flat_scratch 0
		.amdhsa_float_round_mode_32 0
		.amdhsa_float_round_mode_16_64 0
		.amdhsa_float_denorm_mode_32 3
		.amdhsa_float_denorm_mode_16_64 3
		.amdhsa_dx10_clamp 1
		.amdhsa_ieee_mode 1
		.amdhsa_fp16_overflow 0
		.amdhsa_exception_fp_ieee_invalid_op 0
		.amdhsa_exception_fp_denorm_src 0
		.amdhsa_exception_fp_ieee_div_zero 0
		.amdhsa_exception_fp_ieee_overflow 0
		.amdhsa_exception_fp_ieee_underflow 0
		.amdhsa_exception_fp_ieee_inexact 0
		.amdhsa_exception_int_div_zero 0
	.end_amdhsa_kernel
	.text
.Lfunc_end4:
	.size	_Z15updateEy_kernel10FDTD_Setup13Medium_ParamsPfPKfS3_, .Lfunc_end4-_Z15updateEy_kernel10FDTD_Setup13Medium_ParamsPfPKfS3_
                                        ; -- End function
	.set _Z15updateEy_kernel10FDTD_Setup13Medium_ParamsPfPKfS3_.num_vgpr, 16
	.set _Z15updateEy_kernel10FDTD_Setup13Medium_ParamsPfPKfS3_.num_agpr, 0
	.set _Z15updateEy_kernel10FDTD_Setup13Medium_ParamsPfPKfS3_.numbered_sgpr, 16
	.set _Z15updateEy_kernel10FDTD_Setup13Medium_ParamsPfPKfS3_.num_named_barrier, 0
	.set _Z15updateEy_kernel10FDTD_Setup13Medium_ParamsPfPKfS3_.private_seg_size, 0
	.set _Z15updateEy_kernel10FDTD_Setup13Medium_ParamsPfPKfS3_.uses_vcc, 1
	.set _Z15updateEy_kernel10FDTD_Setup13Medium_ParamsPfPKfS3_.uses_flat_scratch, 0
	.set _Z15updateEy_kernel10FDTD_Setup13Medium_ParamsPfPKfS3_.has_dyn_sized_stack, 0
	.set _Z15updateEy_kernel10FDTD_Setup13Medium_ParamsPfPKfS3_.has_recursion, 0
	.set _Z15updateEy_kernel10FDTD_Setup13Medium_ParamsPfPKfS3_.has_indirect_call, 0
	.section	.AMDGPU.csdata,"",@progbits
; Kernel info:
; codeLenInByte = 900
; TotalNumSgprs: 20
; NumVgprs: 16
; ScratchSize: 0
; MemoryBound: 0
; FloatMode: 240
; IeeeMode: 1
; LDSByteSize: 0 bytes/workgroup (compile time only)
; SGPRBlocks: 2
; VGPRBlocks: 3
; NumSGPRsForWavesPerEU: 20
; NumVGPRsForWavesPerEU: 16
; Occupancy: 10
; WaveLimiterHint : 1
; COMPUTE_PGM_RSRC2:SCRATCH_EN: 0
; COMPUTE_PGM_RSRC2:USER_SGPR: 6
; COMPUTE_PGM_RSRC2:TRAP_HANDLER: 0
; COMPUTE_PGM_RSRC2:TGID_X_EN: 1
; COMPUTE_PGM_RSRC2:TGID_Y_EN: 1
; COMPUTE_PGM_RSRC2:TGID_Z_EN: 1
; COMPUTE_PGM_RSRC2:TIDIG_COMP_CNT: 2
	.text
	.protected	_Z15updateEz_kernel10FDTD_Setup13Medium_ParamsPfPKfS3_ ; -- Begin function _Z15updateEz_kernel10FDTD_Setup13Medium_ParamsPfPKfS3_
	.globl	_Z15updateEz_kernel10FDTD_Setup13Medium_ParamsPfPKfS3_
	.p2align	8
	.type	_Z15updateEz_kernel10FDTD_Setup13Medium_ParamsPfPKfS3_,@function
_Z15updateEz_kernel10FDTD_Setup13Medium_ParamsPfPKfS3_: ; @_Z15updateEz_kernel10FDTD_Setup13Medium_ParamsPfPKfS3_
; %bb.0:
	s_load_dwordx2 s[0:1], s[4:5], 0xc4
	s_load_dwordx4 s[12:15], s[4:5], 0x0
	s_waitcnt lgkmcnt(0)
	s_lshr_b32 s2, s0, 16
	s_and_b32 s0, s0, 0xffff
	s_and_b32 s1, s1, 0xffff
	s_mul_i32 s6, s6, s0
	s_mul_i32 s7, s7, s2
	v_add_u32_e32 v3, s6, v0
	v_add_u32_e32 v4, s7, v1
	s_mul_i32 s8, s8, s1
	v_add_u32_e32 v0, s8, v2
	v_cmp_gt_u32_e32 vcc, s12, v3
	v_cmp_gt_u32_e64 s[0:1], s13, v4
	s_add_i32 s2, s14, -1
	s_and_b64 s[0:1], vcc, s[0:1]
	v_cmp_gt_u32_e32 vcc, s2, v0
	s_and_b64 s[0:1], s[0:1], vcc
	s_and_saveexec_b64 s[2:3], s[0:1]
	s_cbranch_execz .LBB5_2
; %bb.1:
	v_mul_lo_u32 v2, v0, s13
	s_load_dwordx4 s[8:11], s[4:5], 0xa0
	s_load_dwordx2 s[2:3], s[4:5], 0x98
	v_mov_b32_e32 v6, 0
	v_max_i32_e32 v7, 1, v3
	v_add_u32_e32 v0, v2, v4
	v_mul_lo_u32 v9, v0, s12
	s_add_i32 s6, s12, -2
	s_load_dwordx2 s[0:1], s[4:5], 0xb0
	s_waitcnt lgkmcnt(0)
	v_mov_b32_e32 v13, s11
	v_add_u32_e32 v5, v9, v3
	v_lshlrev_b64 v[0:1], 2, v[5:6]
	v_add3_u32 v5, v7, v9, -1
	v_lshlrev_b64 v[7:8], 2, v[5:6]
	v_mov_b32_e32 v5, s11
	v_add_co_u32_e32 v7, vcc, s10, v7
	v_addc_co_u32_e32 v8, vcc, v5, v8, vcc
	v_min_u32_e32 v5, s6, v3
	v_add_u32_e32 v5, v9, v5
	v_max_i32_e32 v9, 1, v4
	v_add3_u32 v9, v9, v2, -1
	v_mad_u64_u32 v[9:10], s[6:7], v9, s12, v[3:4]
	s_add_i32 s6, s13, -2
	v_min_u32_e32 v4, s6, v4
	v_add_u32_e32 v2, v2, v4
	v_mad_u64_u32 v[2:3], s[6:7], v2, s12, v[3:4]
	v_mov_b32_e32 v10, v6
	v_lshlrev_b64 v[9:10], 2, v[9:10]
	v_mov_b32_e32 v3, v6
	v_lshlrev_b64 v[11:12], 2, v[5:6]
	v_lshlrev_b64 v[2:3], 2, v[2:3]
	s_load_dword s7, s[4:5], 0x14
	v_mov_b32_e32 v5, s1
	v_add_co_u32_e32 v4, vcc, s0, v9
	v_addc_co_u32_e32 v5, vcc, v5, v10, vcc
	v_mov_b32_e32 v6, s1
	v_add_co_u32_e32 v2, vcc, s0, v2
	v_addc_co_u32_e32 v3, vcc, v6, v3, vcc
	global_load_dword v6, v[4:5], off
	global_load_dword v9, v[2:3], off
	v_add_co_u32_e32 v2, vcc, s10, v11
	v_addc_co_u32_e32 v3, vcc, v13, v12, vcc
	global_load_dword v4, v[7:8], off
	global_load_dword v5, v[2:3], off
	s_load_dwordx2 s[0:1], s[4:5], 0x80
	s_load_dword s6, s[4:5], 0x34
	v_mov_b32_e32 v10, s9
	s_load_dword s4, s[4:5], 0xc
	s_waitcnt lgkmcnt(0)
	v_mov_b32_e32 v3, s1
	v_add_co_u32_e32 v2, vcc, s0, v0
	v_addc_co_u32_e32 v3, vcc, v3, v1, vcc
	global_load_dword v7, v[2:3], off
	v_mov_b32_e32 v3, s3
	v_add_co_u32_e32 v2, vcc, s2, v0
	v_addc_co_u32_e32 v3, vcc, v3, v1, vcc
	global_load_dword v2, v[2:3], off
	v_add_co_u32_e64 v0, s[2:3], s8, v0
	v_addc_co_u32_e64 v1, s[2:3], v10, v1, s[2:3]
	global_load_dword v10, v[0:1], off
	s_waitcnt vmcnt(5)
	v_sub_f32_e32 v3, v9, v6
	v_div_scale_f32 v6, s[0:1], s7, s7, v3
	s_waitcnt vmcnt(3)
	v_sub_f32_e32 v4, v5, v4
	v_div_scale_f32 v5, s[0:1], s4, s4, v4
	v_div_scale_f32 v8, s[0:1], v3, s7, v3
	v_div_scale_f32 v9, vcc, v4, s4, v4
	s_waitcnt vmcnt(2)
	v_mul_f32_e32 v7, 0x2d1bc3b8, v7
	v_rcp_f32_e32 v11, v6
	v_fma_f32 v13, -v6, v11, 1.0
	v_rcp_f32_e32 v12, v5
	v_fmac_f32_e32 v11, v13, v11
	v_mul_f32_e32 v13, v8, v11
	v_fma_f32 v15, -v6, v13, v8
	v_fma_f32 v14, -v5, v12, 1.0
	v_fmac_f32_e32 v12, v14, v12
	v_fmac_f32_e32 v13, v15, v11
	v_mul_f32_e32 v14, v9, v12
	v_fma_f32 v6, -v6, v13, v8
	v_fma_f32 v8, -v5, v14, v9
	v_fmac_f32_e32 v14, v8, v12
	v_fma_f32 v5, -v5, v14, v9
	v_div_fmas_f32 v5, v5, v12, v14
	s_mov_b64 vcc, s[0:1]
	v_div_fmas_f32 v6, v6, v11, v13
	s_waitcnt vmcnt(1)
	v_mul_f32_e32 v2, s6, v2
	v_add_f32_e32 v8, v7, v7
	v_div_scale_f32 v9, s[0:1], v8, v8, v2
	v_div_scale_f32 v11, vcc, v2, v8, v2
	v_div_fixup_f32 v4, v5, s4, v4
	v_div_fixup_f32 v3, v6, s7, v3
	v_sub_f32_e32 v3, v4, v3
	v_div_scale_f32 v4, s[0:1], v7, v7, v3
	v_div_scale_f32 v5, s[0:1], v3, v7, v3
	v_rcp_f32_e32 v6, v9
	v_fma_f32 v12, -v9, v6, 1.0
	v_fmac_f32_e32 v6, v12, v6
	v_mul_f32_e32 v12, v11, v6
	v_fma_f32 v13, -v9, v12, v11
	v_fmac_f32_e32 v12, v13, v6
	v_fma_f32 v9, -v9, v12, v11
	v_div_fmas_f32 v6, v9, v6, v12
	s_mov_b64 vcc, s[0:1]
	v_rcp_f32_e32 v13, v4
	v_fma_f32 v9, -v4, v13, 1.0
	v_fmac_f32_e32 v13, v9, v13
	v_mul_f32_e32 v9, v5, v13
	v_fma_f32 v11, -v4, v9, v5
	v_fmac_f32_e32 v9, v11, v13
	v_fma_f32 v4, -v4, v9, v5
	v_div_fmas_f32 v4, v4, v13, v9
	v_div_fixup_f32 v2, v6, v8, v2
	v_sub_f32_e32 v5, 1.0, v2
	v_add_f32_e32 v2, 1.0, v2
	v_div_fixup_f32 v3, v4, v7, v3
	v_mul_f32_e32 v3, s6, v3
	s_waitcnt vmcnt(0)
	v_fmac_f32_e32 v3, v5, v10
	v_div_scale_f32 v4, s[0:1], v2, v2, v3
	v_div_scale_f32 v5, vcc, v3, v2, v3
	v_rcp_f32_e32 v6, v4
	v_fma_f32 v7, -v4, v6, 1.0
	v_fmac_f32_e32 v6, v7, v6
	v_mul_f32_e32 v7, v5, v6
	v_fma_f32 v8, -v4, v7, v5
	v_fmac_f32_e32 v7, v8, v6
	v_fma_f32 v4, -v4, v7, v5
	v_div_fmas_f32 v4, v4, v6, v7
	v_div_fixup_f32 v2, v4, v2, v3
	global_store_dword v[0:1], v2, off
.LBB5_2:
	s_endpgm
	.section	.rodata,"a",@progbits
	.p2align	6, 0x0
	.amdhsa_kernel _Z15updateEz_kernel10FDTD_Setup13Medium_ParamsPfPKfS3_
		.amdhsa_group_segment_fixed_size 0
		.amdhsa_private_segment_fixed_size 0
		.amdhsa_kernarg_size 440
		.amdhsa_user_sgpr_count 6
		.amdhsa_user_sgpr_private_segment_buffer 1
		.amdhsa_user_sgpr_dispatch_ptr 0
		.amdhsa_user_sgpr_queue_ptr 0
		.amdhsa_user_sgpr_kernarg_segment_ptr 1
		.amdhsa_user_sgpr_dispatch_id 0
		.amdhsa_user_sgpr_flat_scratch_init 0
		.amdhsa_user_sgpr_private_segment_size 0
		.amdhsa_uses_dynamic_stack 0
		.amdhsa_system_sgpr_private_segment_wavefront_offset 0
		.amdhsa_system_sgpr_workgroup_id_x 1
		.amdhsa_system_sgpr_workgroup_id_y 1
		.amdhsa_system_sgpr_workgroup_id_z 1
		.amdhsa_system_sgpr_workgroup_info 0
		.amdhsa_system_vgpr_workitem_id 2
		.amdhsa_next_free_vgpr 16
		.amdhsa_next_free_sgpr 16
		.amdhsa_reserve_vcc 1
		.amdhsa_reserve_flat_scratch 0
		.amdhsa_float_round_mode_32 0
		.amdhsa_float_round_mode_16_64 0
		.amdhsa_float_denorm_mode_32 3
		.amdhsa_float_denorm_mode_16_64 3
		.amdhsa_dx10_clamp 1
		.amdhsa_ieee_mode 1
		.amdhsa_fp16_overflow 0
		.amdhsa_exception_fp_ieee_invalid_op 0
		.amdhsa_exception_fp_denorm_src 0
		.amdhsa_exception_fp_ieee_div_zero 0
		.amdhsa_exception_fp_ieee_overflow 0
		.amdhsa_exception_fp_ieee_underflow 0
		.amdhsa_exception_fp_ieee_inexact 0
		.amdhsa_exception_int_div_zero 0
	.end_amdhsa_kernel
	.text
.Lfunc_end5:
	.size	_Z15updateEz_kernel10FDTD_Setup13Medium_ParamsPfPKfS3_, .Lfunc_end5-_Z15updateEz_kernel10FDTD_Setup13Medium_ParamsPfPKfS3_
                                        ; -- End function
	.set _Z15updateEz_kernel10FDTD_Setup13Medium_ParamsPfPKfS3_.num_vgpr, 16
	.set _Z15updateEz_kernel10FDTD_Setup13Medium_ParamsPfPKfS3_.num_agpr, 0
	.set _Z15updateEz_kernel10FDTD_Setup13Medium_ParamsPfPKfS3_.numbered_sgpr, 16
	.set _Z15updateEz_kernel10FDTD_Setup13Medium_ParamsPfPKfS3_.num_named_barrier, 0
	.set _Z15updateEz_kernel10FDTD_Setup13Medium_ParamsPfPKfS3_.private_seg_size, 0
	.set _Z15updateEz_kernel10FDTD_Setup13Medium_ParamsPfPKfS3_.uses_vcc, 1
	.set _Z15updateEz_kernel10FDTD_Setup13Medium_ParamsPfPKfS3_.uses_flat_scratch, 0
	.set _Z15updateEz_kernel10FDTD_Setup13Medium_ParamsPfPKfS3_.has_dyn_sized_stack, 0
	.set _Z15updateEz_kernel10FDTD_Setup13Medium_ParamsPfPKfS3_.has_recursion, 0
	.set _Z15updateEz_kernel10FDTD_Setup13Medium_ParamsPfPKfS3_.has_indirect_call, 0
	.section	.AMDGPU.csdata,"",@progbits
; Kernel info:
; codeLenInByte = 896
; TotalNumSgprs: 20
; NumVgprs: 16
; ScratchSize: 0
; MemoryBound: 0
; FloatMode: 240
; IeeeMode: 1
; LDSByteSize: 0 bytes/workgroup (compile time only)
; SGPRBlocks: 2
; VGPRBlocks: 3
; NumSGPRsForWavesPerEU: 20
; NumVGPRsForWavesPerEU: 16
; Occupancy: 10
; WaveLimiterHint : 1
; COMPUTE_PGM_RSRC2:SCRATCH_EN: 0
; COMPUTE_PGM_RSRC2:USER_SGPR: 6
; COMPUTE_PGM_RSRC2:TRAP_HANDLER: 0
; COMPUTE_PGM_RSRC2:TGID_X_EN: 1
; COMPUTE_PGM_RSRC2:TGID_Y_EN: 1
; COMPUTE_PGM_RSRC2:TGID_Z_EN: 1
; COMPUTE_PGM_RSRC2:TIDIG_COMP_CNT: 2
	.section	.AMDGPU.gpr_maximums,"",@progbits
	.set amdgpu.max_num_vgpr, 0
	.set amdgpu.max_num_agpr, 0
	.set amdgpu.max_num_sgpr, 0
	.section	.AMDGPU.csdata,"",@progbits
	.type	__hip_cuid_8feb028969640997,@object ; @__hip_cuid_8feb028969640997
	.section	.bss,"aw",@nobits
	.globl	__hip_cuid_8feb028969640997
__hip_cuid_8feb028969640997:
	.byte	0                               ; 0x0
	.size	__hip_cuid_8feb028969640997, 1

	.ident	"AMD clang version 22.0.0git (https://github.com/RadeonOpenCompute/llvm-project roc-7.2.4 26084 f58b06dce1f9c15707c5f808fd002e18c2accf7e)"
	.section	".note.GNU-stack","",@progbits
	.addrsig
	.addrsig_sym __hip_cuid_8feb028969640997
	.amdgpu_metadata
---
amdhsa.kernels:
  - .args:
      - .offset:         0
        .size:           60
        .value_kind:     by_value
      - .address_space:  global
        .offset:         64
        .size:           8
        .value_kind:     global_buffer
      - .offset:         72
        .size:           4
        .value_kind:     by_value
    .group_segment_fixed_size: 0
    .kernarg_segment_align: 8
    .kernarg_segment_size: 76
    .language:       OpenCL C
    .language_version:
      - 2
      - 0
    .max_flat_workgroup_size: 1024
    .name:           _Z19apply_source_kernel10FDTD_SetupPff
    .private_segment_fixed_size: 0
    .sgpr_count:     16
    .sgpr_spill_count: 0
    .symbol:         _Z19apply_source_kernel10FDTD_SetupPff.kd
    .uniform_work_group_size: 1
    .uses_dynamic_stack: false
    .vgpr_count:     2
    .vgpr_spill_count: 0
    .wavefront_size: 64
  - .args:
      - .offset:         0
        .size:           60
        .value_kind:     by_value
      - .offset:         64
        .size:           96
        .value_kind:     by_value
      - .address_space:  global
        .offset:         160
        .size:           8
        .value_kind:     global_buffer
      - .address_space:  global
        .offset:         168
        .size:           8
        .value_kind:     global_buffer
      - .address_space:  global
        .offset:         176
        .size:           8
        .value_kind:     global_buffer
      - .offset:         184
        .size:           4
        .value_kind:     hidden_block_count_x
      - .offset:         188
        .size:           4
        .value_kind:     hidden_block_count_y
      - .offset:         192
        .size:           4
        .value_kind:     hidden_block_count_z
      - .offset:         196
        .size:           2
        .value_kind:     hidden_group_size_x
      - .offset:         198
        .size:           2
        .value_kind:     hidden_group_size_y
      - .offset:         200
        .size:           2
        .value_kind:     hidden_group_size_z
      - .offset:         202
        .size:           2
        .value_kind:     hidden_remainder_x
      - .offset:         204
        .size:           2
        .value_kind:     hidden_remainder_y
      - .offset:         206
        .size:           2
        .value_kind:     hidden_remainder_z
      - .offset:         224
        .size:           8
        .value_kind:     hidden_global_offset_x
      - .offset:         232
        .size:           8
        .value_kind:     hidden_global_offset_y
      - .offset:         240
        .size:           8
        .value_kind:     hidden_global_offset_z
      - .offset:         248
        .size:           2
        .value_kind:     hidden_grid_dims
    .group_segment_fixed_size: 0
    .kernarg_segment_align: 8
    .kernarg_segment_size: 440
    .language:       OpenCL C
    .language_version:
      - 2
      - 0
    .max_flat_workgroup_size: 1024
    .name:           _Z15updateHx_kernel10FDTD_Setup13Medium_ParamsPfPKfS3_
    .private_segment_fixed_size: 0
    .sgpr_count:     20
    .sgpr_spill_count: 0
    .symbol:         _Z15updateHx_kernel10FDTD_Setup13Medium_ParamsPfPKfS3_.kd
    .uniform_work_group_size: 1
    .uses_dynamic_stack: false
    .vgpr_count:     17
    .vgpr_spill_count: 0
    .wavefront_size: 64
  - .args:
      - .offset:         0
        .size:           60
        .value_kind:     by_value
      - .address_space:  global
        .offset:         64
        .size:           8
        .value_kind:     global_buffer
      - .address_space:  global
        .offset:         72
        .size:           8
        .value_kind:     global_buffer
      - .address_space:  global
        .offset:         80
        .size:           8
        .value_kind:     global_buffer
      - .address_space:  global
        .offset:         88
        .size:           8
        .value_kind:     global_buffer
      - .address_space:  global
        .offset:         96
        .size:           8
        .value_kind:     global_buffer
      - .offset:         104
        .size:           4
        .value_kind:     by_value
      - .offset:         108
        .size:           4
        .value_kind:     by_value
      - .offset:         112
        .size:           4
        .value_kind:     by_value
      - .offset:         116
        .size:           4
        .value_kind:     by_value
      - .offset:         120
        .size:           4
        .value_kind:     by_value
      - .offset:         124
        .size:           4
        .value_kind:     by_value
      - .offset:         128
        .size:           4
        .value_kind:     by_value
      - .offset:         136
        .size:           4
        .value_kind:     hidden_block_count_x
      - .offset:         140
        .size:           4
        .value_kind:     hidden_block_count_y
      - .offset:         144
        .size:           4
        .value_kind:     hidden_block_count_z
      - .offset:         148
        .size:           2
        .value_kind:     hidden_group_size_x
      - .offset:         150
        .size:           2
        .value_kind:     hidden_group_size_y
      - .offset:         152
        .size:           2
        .value_kind:     hidden_group_size_z
      - .offset:         154
        .size:           2
        .value_kind:     hidden_remainder_x
      - .offset:         156
        .size:           2
        .value_kind:     hidden_remainder_y
      - .offset:         158
        .size:           2
        .value_kind:     hidden_remainder_z
      - .offset:         176
        .size:           8
        .value_kind:     hidden_global_offset_x
      - .offset:         184
        .size:           8
        .value_kind:     hidden_global_offset_y
      - .offset:         192
        .size:           8
        .value_kind:     hidden_global_offset_z
      - .offset:         200
        .size:           2
        .value_kind:     hidden_grid_dims
    .group_segment_fixed_size: 0
    .kernarg_segment_align: 8
    .kernarg_segment_size: 392
    .language:       OpenCL C
    .language_version:
      - 2
      - 0
    .max_flat_workgroup_size: 1024
    .name:           _Z14updateH_kernel10FDTD_SetupPfPKfS2_S0_S0_ffjjjjj
    .private_segment_fixed_size: 0
    .sgpr_count:     24
    .sgpr_spill_count: 0
    .symbol:         _Z14updateH_kernel10FDTD_SetupPfPKfS2_S0_S0_ffjjjjj.kd
    .uniform_work_group_size: 1
    .uses_dynamic_stack: false
    .vgpr_count:     16
    .vgpr_spill_count: 0
    .wavefront_size: 64
  - .args:
      - .offset:         0
        .size:           60
        .value_kind:     by_value
      - .offset:         64
        .size:           96
        .value_kind:     by_value
      - .address_space:  global
        .offset:         160
        .size:           8
        .value_kind:     global_buffer
      - .address_space:  global
        .offset:         168
        .size:           8
        .value_kind:     global_buffer
      - .address_space:  global
        .offset:         176
        .size:           8
        .value_kind:     global_buffer
      - .offset:         184
        .size:           4
        .value_kind:     hidden_block_count_x
      - .offset:         188
        .size:           4
        .value_kind:     hidden_block_count_y
      - .offset:         192
        .size:           4
        .value_kind:     hidden_block_count_z
      - .offset:         196
        .size:           2
        .value_kind:     hidden_group_size_x
      - .offset:         198
        .size:           2
        .value_kind:     hidden_group_size_y
      - .offset:         200
        .size:           2
        .value_kind:     hidden_group_size_z
      - .offset:         202
        .size:           2
        .value_kind:     hidden_remainder_x
      - .offset:         204
        .size:           2
        .value_kind:     hidden_remainder_y
      - .offset:         206
        .size:           2
        .value_kind:     hidden_remainder_z
      - .offset:         224
        .size:           8
        .value_kind:     hidden_global_offset_x
      - .offset:         232
        .size:           8
        .value_kind:     hidden_global_offset_y
      - .offset:         240
        .size:           8
        .value_kind:     hidden_global_offset_z
      - .offset:         248
        .size:           2
        .value_kind:     hidden_grid_dims
    .group_segment_fixed_size: 0
    .kernarg_segment_align: 8
    .kernarg_segment_size: 440
    .language:       OpenCL C
    .language_version:
      - 2
      - 0
    .max_flat_workgroup_size: 1024
    .name:           _Z15updateEx_kernel10FDTD_Setup13Medium_ParamsPfPKfS3_
    .private_segment_fixed_size: 0
    .sgpr_count:     20
    .sgpr_spill_count: 0
    .symbol:         _Z15updateEx_kernel10FDTD_Setup13Medium_ParamsPfPKfS3_.kd
    .uniform_work_group_size: 1
    .uses_dynamic_stack: false
    .vgpr_count:     16
    .vgpr_spill_count: 0
    .wavefront_size: 64
  - .args:
      - .offset:         0
        .size:           60
        .value_kind:     by_value
      - .offset:         64
        .size:           96
        .value_kind:     by_value
      - .address_space:  global
        .offset:         160
        .size:           8
        .value_kind:     global_buffer
      - .address_space:  global
        .offset:         168
        .size:           8
        .value_kind:     global_buffer
      - .address_space:  global
        .offset:         176
        .size:           8
        .value_kind:     global_buffer
      - .offset:         184
        .size:           4
        .value_kind:     hidden_block_count_x
      - .offset:         188
        .size:           4
        .value_kind:     hidden_block_count_y
      - .offset:         192
        .size:           4
        .value_kind:     hidden_block_count_z
      - .offset:         196
        .size:           2
        .value_kind:     hidden_group_size_x
      - .offset:         198
        .size:           2
        .value_kind:     hidden_group_size_y
      - .offset:         200
        .size:           2
        .value_kind:     hidden_group_size_z
      - .offset:         202
        .size:           2
        .value_kind:     hidden_remainder_x
      - .offset:         204
        .size:           2
        .value_kind:     hidden_remainder_y
      - .offset:         206
        .size:           2
        .value_kind:     hidden_remainder_z
      - .offset:         224
        .size:           8
        .value_kind:     hidden_global_offset_x
      - .offset:         232
        .size:           8
        .value_kind:     hidden_global_offset_y
      - .offset:         240
        .size:           8
        .value_kind:     hidden_global_offset_z
      - .offset:         248
        .size:           2
        .value_kind:     hidden_grid_dims
    .group_segment_fixed_size: 0
    .kernarg_segment_align: 8
    .kernarg_segment_size: 440
    .language:       OpenCL C
    .language_version:
      - 2
      - 0
    .max_flat_workgroup_size: 1024
    .name:           _Z15updateEy_kernel10FDTD_Setup13Medium_ParamsPfPKfS3_
    .private_segment_fixed_size: 0
    .sgpr_count:     20
    .sgpr_spill_count: 0
    .symbol:         _Z15updateEy_kernel10FDTD_Setup13Medium_ParamsPfPKfS3_.kd
    .uniform_work_group_size: 1
    .uses_dynamic_stack: false
    .vgpr_count:     16
    .vgpr_spill_count: 0
    .wavefront_size: 64
  - .args:
      - .offset:         0
        .size:           60
        .value_kind:     by_value
      - .offset:         64
        .size:           96
        .value_kind:     by_value
      - .address_space:  global
        .offset:         160
        .size:           8
        .value_kind:     global_buffer
      - .address_space:  global
        .offset:         168
        .size:           8
        .value_kind:     global_buffer
      - .address_space:  global
        .offset:         176
        .size:           8
        .value_kind:     global_buffer
      - .offset:         184
        .size:           4
        .value_kind:     hidden_block_count_x
      - .offset:         188
        .size:           4
        .value_kind:     hidden_block_count_y
      - .offset:         192
        .size:           4
        .value_kind:     hidden_block_count_z
      - .offset:         196
        .size:           2
        .value_kind:     hidden_group_size_x
      - .offset:         198
        .size:           2
        .value_kind:     hidden_group_size_y
      - .offset:         200
        .size:           2
        .value_kind:     hidden_group_size_z
      - .offset:         202
        .size:           2
        .value_kind:     hidden_remainder_x
      - .offset:         204
        .size:           2
        .value_kind:     hidden_remainder_y
      - .offset:         206
        .size:           2
        .value_kind:     hidden_remainder_z
      - .offset:         224
        .size:           8
        .value_kind:     hidden_global_offset_x
      - .offset:         232
        .size:           8
        .value_kind:     hidden_global_offset_y
      - .offset:         240
        .size:           8
        .value_kind:     hidden_global_offset_z
      - .offset:         248
        .size:           2
        .value_kind:     hidden_grid_dims
    .group_segment_fixed_size: 0
    .kernarg_segment_align: 8
    .kernarg_segment_size: 440
    .language:       OpenCL C
    .language_version:
      - 2
      - 0
    .max_flat_workgroup_size: 1024
    .name:           _Z15updateEz_kernel10FDTD_Setup13Medium_ParamsPfPKfS3_
    .private_segment_fixed_size: 0
    .sgpr_count:     20
    .sgpr_spill_count: 0
    .symbol:         _Z15updateEz_kernel10FDTD_Setup13Medium_ParamsPfPKfS3_.kd
    .uniform_work_group_size: 1
    .uses_dynamic_stack: false
    .vgpr_count:     16
    .vgpr_spill_count: 0
    .wavefront_size: 64
amdhsa.target:   amdgcn-amd-amdhsa--gfx906
amdhsa.version:
  - 1
  - 2
...

	.end_amdgpu_metadata
